;; amdgpu-corpus repo=ROCm/rocFFT kind=compiled arch=gfx1201 opt=O3
	.text
	.amdgcn_target "amdgcn-amd-amdhsa--gfx1201"
	.amdhsa_code_object_version 6
	.protected	fft_rtc_fwd_len264_factors_8_3_11_wgs_231_tpt_33_half_ip_CI_sbrr_dirReg ; -- Begin function fft_rtc_fwd_len264_factors_8_3_11_wgs_231_tpt_33_half_ip_CI_sbrr_dirReg
	.globl	fft_rtc_fwd_len264_factors_8_3_11_wgs_231_tpt_33_half_ip_CI_sbrr_dirReg
	.p2align	8
	.type	fft_rtc_fwd_len264_factors_8_3_11_wgs_231_tpt_33_half_ip_CI_sbrr_dirReg,@function
fft_rtc_fwd_len264_factors_8_3_11_wgs_231_tpt_33_half_ip_CI_sbrr_dirReg: ; @fft_rtc_fwd_len264_factors_8_3_11_wgs_231_tpt_33_half_ip_CI_sbrr_dirReg
; %bb.0:
	s_clause 0x1
	s_load_b64 s[12:13], s[0:1], 0x18
	s_load_b128 s[4:7], s[0:1], 0x0
	v_mul_u32_u24_e32 v1, 0x7c2, v0
	v_mov_b32_e32 v5, 0
	s_load_b64 s[10:11], s[0:1], 0x50
	s_wait_kmcnt 0x0
	s_load_b64 s[8:9], s[12:13], 0x0
	v_lshrrev_b32_e32 v1, 16, v1
	v_cmp_lt_u64_e64 s2, s[6:7], 2
	s_delay_alu instid0(VALU_DEP_2) | instskip(SKIP_4) | instid1(VALU_DEP_1)
	v_mad_co_u64_u32 v[1:2], null, ttmp9, 7, v[1:2]
	v_mov_b32_e32 v3, 0
	v_mov_b32_e32 v4, 0
	;; [unrolled: 1-line block ×3, first 2 shown]
	s_and_b32 vcc_lo, exec_lo, s2
	v_dual_mov_b32 v10, v2 :: v_dual_mov_b32 v9, v1
	s_cbranch_vccnz .LBB0_8
; %bb.1:
	s_load_b64 s[2:3], s[0:1], 0x10
	v_dual_mov_b32 v3, 0 :: v_dual_mov_b32 v8, v2
	v_dual_mov_b32 v4, 0 :: v_dual_mov_b32 v7, v1
	s_add_nc_u64 s[14:15], s[12:13], 8
	s_mov_b64 s[16:17], 1
	s_wait_kmcnt 0x0
	s_add_nc_u64 s[18:19], s[2:3], 8
	s_mov_b32 s3, 0
.LBB0_2:                                ; =>This Inner Loop Header: Depth=1
	s_load_b64 s[20:21], s[18:19], 0x0
                                        ; implicit-def: $vgpr9_vgpr10
	s_mov_b32 s2, exec_lo
	s_wait_kmcnt 0x0
	v_or_b32_e32 v6, s21, v8
	s_delay_alu instid0(VALU_DEP_1)
	v_cmpx_ne_u64_e32 0, v[5:6]
	s_wait_alu 0xfffe
	s_xor_b32 s22, exec_lo, s2
	s_cbranch_execz .LBB0_4
; %bb.3:                                ;   in Loop: Header=BB0_2 Depth=1
	s_cvt_f32_u32 s2, s20
	s_cvt_f32_u32 s23, s21
	s_sub_nc_u64 s[26:27], 0, s[20:21]
	s_wait_alu 0xfffe
	s_delay_alu instid0(SALU_CYCLE_1) | instskip(SKIP_1) | instid1(SALU_CYCLE_2)
	s_fmamk_f32 s2, s23, 0x4f800000, s2
	s_wait_alu 0xfffe
	v_s_rcp_f32 s2, s2
	s_delay_alu instid0(TRANS32_DEP_1) | instskip(SKIP_1) | instid1(SALU_CYCLE_2)
	s_mul_f32 s2, s2, 0x5f7ffffc
	s_wait_alu 0xfffe
	s_mul_f32 s23, s2, 0x2f800000
	s_wait_alu 0xfffe
	s_delay_alu instid0(SALU_CYCLE_2) | instskip(SKIP_1) | instid1(SALU_CYCLE_2)
	s_trunc_f32 s23, s23
	s_wait_alu 0xfffe
	s_fmamk_f32 s2, s23, 0xcf800000, s2
	s_cvt_u32_f32 s25, s23
	s_wait_alu 0xfffe
	s_delay_alu instid0(SALU_CYCLE_1) | instskip(SKIP_1) | instid1(SALU_CYCLE_2)
	s_cvt_u32_f32 s24, s2
	s_wait_alu 0xfffe
	s_mul_u64 s[28:29], s[26:27], s[24:25]
	s_wait_alu 0xfffe
	s_mul_hi_u32 s31, s24, s29
	s_mul_i32 s30, s24, s29
	s_mul_hi_u32 s2, s24, s28
	s_mul_i32 s33, s25, s28
	s_wait_alu 0xfffe
	s_add_nc_u64 s[30:31], s[2:3], s[30:31]
	s_mul_hi_u32 s23, s25, s28
	s_mul_hi_u32 s34, s25, s29
	s_add_co_u32 s2, s30, s33
	s_wait_alu 0xfffe
	s_add_co_ci_u32 s2, s31, s23
	s_mul_i32 s28, s25, s29
	s_add_co_ci_u32 s29, s34, 0
	s_wait_alu 0xfffe
	s_add_nc_u64 s[28:29], s[2:3], s[28:29]
	s_wait_alu 0xfffe
	v_add_co_u32 v2, s2, s24, s28
	s_delay_alu instid0(VALU_DEP_1) | instskip(SKIP_1) | instid1(VALU_DEP_1)
	s_cmp_lg_u32 s2, 0
	s_add_co_ci_u32 s25, s25, s29
	v_readfirstlane_b32 s24, v2
	s_wait_alu 0xfffe
	s_delay_alu instid0(VALU_DEP_1)
	s_mul_u64 s[26:27], s[26:27], s[24:25]
	s_wait_alu 0xfffe
	s_mul_hi_u32 s29, s24, s27
	s_mul_i32 s28, s24, s27
	s_mul_hi_u32 s2, s24, s26
	s_mul_i32 s30, s25, s26
	s_wait_alu 0xfffe
	s_add_nc_u64 s[28:29], s[2:3], s[28:29]
	s_mul_hi_u32 s23, s25, s26
	s_mul_hi_u32 s24, s25, s27
	s_wait_alu 0xfffe
	s_add_co_u32 s2, s28, s30
	s_add_co_ci_u32 s2, s29, s23
	s_mul_i32 s26, s25, s27
	s_add_co_ci_u32 s27, s24, 0
	s_wait_alu 0xfffe
	s_add_nc_u64 s[26:27], s[2:3], s[26:27]
	s_wait_alu 0xfffe
	v_add_co_u32 v2, s2, v2, s26
	s_delay_alu instid0(VALU_DEP_1) | instskip(SKIP_1) | instid1(VALU_DEP_1)
	s_cmp_lg_u32 s2, 0
	s_add_co_ci_u32 s2, s25, s27
	v_mul_hi_u32 v6, v7, v2
	s_wait_alu 0xfffe
	v_mad_co_u64_u32 v[9:10], null, v7, s2, 0
	v_mad_co_u64_u32 v[11:12], null, v8, v2, 0
	;; [unrolled: 1-line block ×3, first 2 shown]
	s_delay_alu instid0(VALU_DEP_3) | instskip(SKIP_1) | instid1(VALU_DEP_4)
	v_add_co_u32 v2, vcc_lo, v6, v9
	s_wait_alu 0xfffd
	v_add_co_ci_u32_e32 v6, vcc_lo, 0, v10, vcc_lo
	s_delay_alu instid0(VALU_DEP_2) | instskip(SKIP_1) | instid1(VALU_DEP_2)
	v_add_co_u32 v2, vcc_lo, v2, v11
	s_wait_alu 0xfffd
	v_add_co_ci_u32_e32 v2, vcc_lo, v6, v12, vcc_lo
	s_wait_alu 0xfffd
	v_add_co_ci_u32_e32 v6, vcc_lo, 0, v14, vcc_lo
	s_delay_alu instid0(VALU_DEP_2) | instskip(SKIP_1) | instid1(VALU_DEP_2)
	v_add_co_u32 v2, vcc_lo, v2, v13
	s_wait_alu 0xfffd
	v_add_co_ci_u32_e32 v6, vcc_lo, 0, v6, vcc_lo
	s_delay_alu instid0(VALU_DEP_2) | instskip(SKIP_1) | instid1(VALU_DEP_3)
	v_mul_lo_u32 v11, s21, v2
	v_mad_co_u64_u32 v[9:10], null, s20, v2, 0
	v_mul_lo_u32 v12, s20, v6
	s_delay_alu instid0(VALU_DEP_2) | instskip(NEXT) | instid1(VALU_DEP_2)
	v_sub_co_u32 v9, vcc_lo, v7, v9
	v_add3_u32 v10, v10, v12, v11
	s_delay_alu instid0(VALU_DEP_1) | instskip(SKIP_1) | instid1(VALU_DEP_1)
	v_sub_nc_u32_e32 v11, v8, v10
	s_wait_alu 0xfffd
	v_subrev_co_ci_u32_e64 v11, s2, s21, v11, vcc_lo
	v_add_co_u32 v12, s2, v2, 2
	s_wait_alu 0xf1ff
	v_add_co_ci_u32_e64 v13, s2, 0, v6, s2
	v_sub_co_u32 v14, s2, v9, s20
	v_sub_co_ci_u32_e32 v10, vcc_lo, v8, v10, vcc_lo
	s_wait_alu 0xf1ff
	v_subrev_co_ci_u32_e64 v11, s2, 0, v11, s2
	s_delay_alu instid0(VALU_DEP_3) | instskip(NEXT) | instid1(VALU_DEP_3)
	v_cmp_le_u32_e32 vcc_lo, s20, v14
	v_cmp_eq_u32_e64 s2, s21, v10
	s_wait_alu 0xfffd
	v_cndmask_b32_e64 v14, 0, -1, vcc_lo
	v_cmp_le_u32_e32 vcc_lo, s21, v11
	s_wait_alu 0xfffd
	v_cndmask_b32_e64 v15, 0, -1, vcc_lo
	v_cmp_le_u32_e32 vcc_lo, s20, v9
	;; [unrolled: 3-line block ×3, first 2 shown]
	s_wait_alu 0xfffd
	v_cndmask_b32_e64 v16, 0, -1, vcc_lo
	v_cmp_eq_u32_e32 vcc_lo, s21, v11
	s_wait_alu 0xf1ff
	s_delay_alu instid0(VALU_DEP_2)
	v_cndmask_b32_e64 v9, v16, v9, s2
	s_wait_alu 0xfffd
	v_cndmask_b32_e32 v11, v15, v14, vcc_lo
	v_add_co_u32 v14, vcc_lo, v2, 1
	s_wait_alu 0xfffd
	v_add_co_ci_u32_e32 v15, vcc_lo, 0, v6, vcc_lo
	s_delay_alu instid0(VALU_DEP_3) | instskip(SKIP_1) | instid1(VALU_DEP_2)
	v_cmp_ne_u32_e32 vcc_lo, 0, v11
	s_wait_alu 0xfffd
	v_dual_cndmask_b32 v10, v15, v13 :: v_dual_cndmask_b32 v11, v14, v12
	v_cmp_ne_u32_e32 vcc_lo, 0, v9
	s_wait_alu 0xfffd
	s_delay_alu instid0(VALU_DEP_2) | instskip(NEXT) | instid1(VALU_DEP_3)
	v_cndmask_b32_e32 v10, v6, v10, vcc_lo
	v_cndmask_b32_e32 v9, v2, v11, vcc_lo
.LBB0_4:                                ;   in Loop: Header=BB0_2 Depth=1
	s_wait_alu 0xfffe
	s_and_not1_saveexec_b32 s2, s22
	s_cbranch_execz .LBB0_6
; %bb.5:                                ;   in Loop: Header=BB0_2 Depth=1
	v_cvt_f32_u32_e32 v2, s20
	s_sub_co_i32 s22, 0, s20
	s_delay_alu instid0(VALU_DEP_1) | instskip(NEXT) | instid1(TRANS32_DEP_1)
	v_rcp_iflag_f32_e32 v2, v2
	v_mul_f32_e32 v2, 0x4f7ffffe, v2
	s_delay_alu instid0(VALU_DEP_1) | instskip(SKIP_1) | instid1(VALU_DEP_1)
	v_cvt_u32_f32_e32 v2, v2
	s_wait_alu 0xfffe
	v_mul_lo_u32 v6, s22, v2
	s_delay_alu instid0(VALU_DEP_1) | instskip(NEXT) | instid1(VALU_DEP_1)
	v_mul_hi_u32 v6, v2, v6
	v_add_nc_u32_e32 v2, v2, v6
	s_delay_alu instid0(VALU_DEP_1) | instskip(NEXT) | instid1(VALU_DEP_1)
	v_mul_hi_u32 v2, v7, v2
	v_mul_lo_u32 v6, v2, s20
	v_add_nc_u32_e32 v9, 1, v2
	s_delay_alu instid0(VALU_DEP_2) | instskip(NEXT) | instid1(VALU_DEP_1)
	v_sub_nc_u32_e32 v6, v7, v6
	v_subrev_nc_u32_e32 v10, s20, v6
	v_cmp_le_u32_e32 vcc_lo, s20, v6
	s_wait_alu 0xfffd
	s_delay_alu instid0(VALU_DEP_2) | instskip(SKIP_2) | instid1(VALU_DEP_3)
	v_cndmask_b32_e32 v6, v6, v10, vcc_lo
	v_mov_b32_e32 v10, v5
	v_cndmask_b32_e32 v2, v2, v9, vcc_lo
	v_cmp_le_u32_e32 vcc_lo, s20, v6
	s_delay_alu instid0(VALU_DEP_2) | instskip(SKIP_1) | instid1(VALU_DEP_1)
	v_add_nc_u32_e32 v9, 1, v2
	s_wait_alu 0xfffd
	v_cndmask_b32_e32 v9, v2, v9, vcc_lo
.LBB0_6:                                ;   in Loop: Header=BB0_2 Depth=1
	s_wait_alu 0xfffe
	s_or_b32 exec_lo, exec_lo, s2
	s_load_b64 s[22:23], s[14:15], 0x0
	v_mul_lo_u32 v2, v10, s20
	v_mul_lo_u32 v6, v9, s21
	v_mad_co_u64_u32 v[11:12], null, v9, s20, 0
	s_add_nc_u64 s[16:17], s[16:17], 1
	s_add_nc_u64 s[14:15], s[14:15], 8
	s_wait_alu 0xfffe
	v_cmp_ge_u64_e64 s2, s[16:17], s[6:7]
	s_add_nc_u64 s[18:19], s[18:19], 8
	s_delay_alu instid0(VALU_DEP_2) | instskip(NEXT) | instid1(VALU_DEP_3)
	v_add3_u32 v2, v12, v6, v2
	v_sub_co_u32 v6, vcc_lo, v7, v11
	s_wait_alu 0xfffd
	s_delay_alu instid0(VALU_DEP_2) | instskip(SKIP_3) | instid1(VALU_DEP_2)
	v_sub_co_ci_u32_e32 v2, vcc_lo, v8, v2, vcc_lo
	s_and_b32 vcc_lo, exec_lo, s2
	s_wait_kmcnt 0x0
	v_mul_lo_u32 v7, s23, v6
	v_mul_lo_u32 v2, s22, v2
	v_mad_co_u64_u32 v[3:4], null, s22, v6, v[3:4]
	s_delay_alu instid0(VALU_DEP_1)
	v_add3_u32 v4, v7, v4, v2
	s_wait_alu 0xfffe
	s_cbranch_vccnz .LBB0_8
; %bb.7:                                ;   in Loop: Header=BB0_2 Depth=1
	v_dual_mov_b32 v7, v9 :: v_dual_mov_b32 v8, v10
	s_branch .LBB0_2
.LBB0_8:
	s_lshl_b64 s[2:3], s[6:7], 3
	v_mul_hi_u32 v2, 0x7c1f07d, v0
	s_wait_alu 0xfffe
	s_add_nc_u64 s[2:3], s[12:13], s[2:3]
	s_load_b64 s[2:3], s[2:3], 0x0
	s_load_b64 s[0:1], s[0:1], 0x20
	s_delay_alu instid0(VALU_DEP_1) | instskip(NEXT) | instid1(VALU_DEP_1)
	v_mul_u32_u24_e32 v5, 33, v2
	v_sub_nc_u32_e32 v26, v0, v5
	s_delay_alu instid0(VALU_DEP_1)
	v_add_nc_u32_e32 v7, 33, v26
	s_wait_kmcnt 0x0
	v_mul_lo_u32 v6, s2, v10
	v_mul_lo_u32 v8, s3, v9
	v_mad_co_u64_u32 v[2:3], null, s2, v9, v[3:4]
	v_cmp_gt_u64_e32 vcc_lo, s[0:1], v[9:10]
	v_cmp_le_u64_e64 s0, s[0:1], v[9:10]
                                        ; implicit-def: $sgpr2
	s_delay_alu instid0(VALU_DEP_3) | instskip(SKIP_1) | instid1(VALU_DEP_3)
	v_add3_u32 v3, v8, v3, v6
	v_add_nc_u32_e32 v6, 0x42, v26
	s_and_saveexec_b32 s1, s0
	s_wait_alu 0xfffe
	s_xor_b32 s0, exec_lo, s1
; %bb.9:
	v_add_nc_u32_e32 v7, 33, v26
	v_add_nc_u32_e32 v6, 0x42, v26
	s_mov_b32 s2, 0
; %bb.10:
	s_wait_alu 0xfffe
	s_or_saveexec_b32 s1, s0
	v_lshlrev_b64_e32 v[12:13], 2, v[2:3]
	v_dual_mov_b32 v0, s2 :: v_dual_mov_b32 v3, s2
	v_mov_b32_e32 v2, s2
	v_mov_b32_e32 v4, s2
                                        ; implicit-def: $vgpr8
                                        ; implicit-def: $vgpr10
                                        ; implicit-def: $vgpr5
                                        ; implicit-def: $vgpr9
	s_wait_alu 0xfffe
	s_xor_b32 exec_lo, exec_lo, s1
	s_cbranch_execz .LBB0_12
; %bb.11:
	v_mad_co_u64_u32 v[2:3], null, s8, v26, 0
	v_mad_co_u64_u32 v[4:5], null, s8, v7, 0
	;; [unrolled: 1-line block ×3, first 2 shown]
	v_add_nc_u32_e32 v21, 0xa5, v26
	v_add_co_u32 v25, s0, s10, v12
	v_dual_mov_b32 v0, v3 :: v_dual_add_nc_u32 v19, 0x63, v26
	v_mov_b32_e32 v3, v5
	s_wait_alu 0xf1ff
	v_add_co_ci_u32_e64 v27, s0, s11, v13, s0
	s_delay_alu instid0(VALU_DEP_3) | instskip(SKIP_3) | instid1(VALU_DEP_3)
	v_mad_co_u64_u32 v[10:11], null, s9, v26, v[0:1]
	v_mov_b32_e32 v0, v9
	v_mad_co_u64_u32 v[14:15], null, s8, v19, 0
	v_mad_co_u64_u32 v[16:17], null, s9, v7, v[3:4]
	;; [unrolled: 1-line block ×3, first 2 shown]
	v_dual_mov_b32 v3, v10 :: v_dual_add_nc_u32 v18, 0x84, v26
	s_delay_alu instid0(VALU_DEP_3) | instskip(NEXT) | instid1(VALU_DEP_2)
	v_dual_mov_b32 v0, v15 :: v_dual_mov_b32 v5, v16
	v_lshlrev_b64_e32 v[2:3], 2, v[2:3]
	s_delay_alu instid0(VALU_DEP_3) | instskip(NEXT) | instid1(VALU_DEP_3)
	v_mad_co_u64_u32 v[10:11], null, s8, v18, 0
	v_mad_co_u64_u32 v[15:16], null, s9, v19, v[0:1]
	v_mov_b32_e32 v9, v17
	v_mad_co_u64_u32 v[16:17], null, s8, v21, 0
	v_lshlrev_b64_e32 v[4:5], 2, v[4:5]
	v_mov_b32_e32 v0, v11
	v_add_co_u32 v2, s0, v25, v2
	v_lshlrev_b64_e32 v[8:9], 2, v[8:9]
	s_wait_alu 0xf1ff
	v_add_co_ci_u32_e64 v3, s0, v27, v3, s0
	v_mad_co_u64_u32 v[18:19], null, s9, v18, v[0:1]
	v_mov_b32_e32 v0, v17
	v_add_nc_u32_e32 v24, 0xc6, v26
	v_add_co_u32 v4, s0, v25, v4
	v_lshlrev_b64_e32 v[14:15], 2, v[14:15]
	s_delay_alu instid0(VALU_DEP_4) | instskip(SKIP_4) | instid1(VALU_DEP_4)
	v_mad_co_u64_u32 v[21:22], null, s9, v21, v[0:1]
	v_dual_mov_b32 v11, v18 :: v_dual_add_nc_u32 v28, 0xe7, v26
	v_mad_co_u64_u32 v[19:20], null, s8, v24, 0
	s_wait_alu 0xf1ff
	v_add_co_ci_u32_e64 v5, s0, v27, v5, s0
	v_mov_b32_e32 v17, v21
	v_mad_co_u64_u32 v[22:23], null, s8, v28, 0
	v_add_co_u32 v8, s0, v25, v8
	v_mov_b32_e32 v0, v20
	v_lshlrev_b64_e32 v[10:11], 2, v[10:11]
	s_wait_alu 0xf1ff
	v_add_co_ci_u32_e64 v9, s0, v27, v9, s0
	v_add_co_u32 v14, s0, v25, v14
	v_mad_co_u64_u32 v[20:21], null, s9, v24, v[0:1]
	v_mov_b32_e32 v0, v23
	v_lshlrev_b64_e32 v[16:17], 2, v[16:17]
	s_wait_alu 0xf1ff
	v_add_co_ci_u32_e64 v15, s0, v27, v15, s0
	v_add_co_u32 v10, s0, v25, v10
	v_mad_co_u64_u32 v[23:24], null, s9, v28, v[0:1]
	v_lshlrev_b64_e32 v[18:19], 2, v[19:20]
	s_wait_alu 0xf1ff
	v_add_co_ci_u32_e64 v11, s0, v27, v11, s0
	v_add_co_u32 v16, s0, v25, v16
	s_wait_alu 0xf1ff
	v_add_co_ci_u32_e64 v17, s0, v27, v17, s0
	v_lshlrev_b64_e32 v[20:21], 2, v[22:23]
	v_add_co_u32 v18, s0, v25, v18
	s_wait_alu 0xf1ff
	v_add_co_ci_u32_e64 v19, s0, v27, v19, s0
	s_delay_alu instid0(VALU_DEP_3)
	v_add_co_u32 v20, s0, v25, v20
	s_wait_alu 0xf1ff
	v_add_co_ci_u32_e64 v21, s0, v27, v21, s0
	s_clause 0x7
	global_load_b32 v0, v[2:3], off
	global_load_b32 v2, v[4:5], off
	;; [unrolled: 1-line block ×8, first 2 shown]
.LBB0_12:
	s_or_b32 exec_lo, exec_lo, s1
	v_mul_hi_u32 v11, 0x24924925, v1
	s_wait_loadcnt 0x3
	v_pk_add_f16 v8, v0, v8 neg_lo:[0,1] neg_hi:[0,1]
	s_wait_loadcnt 0x1
	v_pk_add_f16 v10, v3, v10 neg_lo:[0,1] neg_hi:[0,1]
	v_pk_add_f16 v5, v2, v5 op_sel:[1,1] op_sel_hi:[0,0] neg_lo:[0,1] neg_hi:[0,1]
	s_wait_loadcnt 0x0
	v_pk_add_f16 v9, v4, v9 op_sel:[1,1] op_sel_hi:[0,0] neg_lo:[0,1] neg_hi:[0,1]
	v_cmp_gt_u32_e64 s0, 22, v26
	v_lshrrev_b32_e32 v16, 16, v8
	v_lshrrev_b32_e32 v15, 16, v10
	v_sub_nc_u32_e32 v14, v1, v11
	v_lshrrev_b32_e32 v17, 16, v5
	v_pk_fma_f16 v3, v3, 2.0, v10 op_sel_hi:[1,0,1] neg_lo:[0,0,1] neg_hi:[0,0,1]
	v_lshrrev_b32_e32 v18, 16, v9
	v_sub_f16_e32 v15, v8, v15
	v_lshrrev_b32_e32 v14, 1, v14
	v_add_f16_e32 v19, v16, v10
	v_pk_fma_f16 v0, v0, 2.0, v8 op_sel_hi:[1,0,1] neg_lo:[0,0,1] neg_hi:[0,0,1]
	v_pk_fma_f16 v2, v2, 2.0, v5 op_sel:[1,0,0] op_sel_hi:[0,0,1] neg_lo:[0,0,1] neg_hi:[0,0,1]
	v_pk_fma_f16 v4, v4, 2.0, v9 op_sel:[1,0,0] op_sel_hi:[0,0,1] neg_lo:[0,0,1] neg_hi:[0,0,1]
	v_add_nc_u32_e32 v10, v14, v11
	v_sub_f16_e32 v11, v17, v9
	v_add_f16_e32 v14, v5, v18
	v_fma_f16 v8, v8, 2.0, -v15
	v_pk_add_f16 v3, v0, v3 neg_lo:[0,1] neg_hi:[0,1]
	v_lshrrev_b32_e32 v9, 2, v10
	v_fma_f16 v10, v17, 2.0, -v11
	v_pk_add_f16 v4, v2, v4 neg_lo:[0,1] neg_hi:[0,1]
	v_fma_f16 v5, v5, 2.0, -v14
	v_fma_f16 v16, v16, 2.0, -v19
	v_mul_lo_u32 v9, v9, 7
	v_fmamk_f16 v20, v10, 0xb9a8, v8
	v_pk_add_f16 v17, v3, v4
	v_pk_fma_f16 v22, v0, 2.0, v3 op_sel_hi:[1,0,1] neg_lo:[0,0,1] neg_hi:[0,0,1]
	v_pk_fma_f16 v0, v2, 2.0, v4 op_sel_hi:[1,0,1] neg_lo:[0,0,1] neg_hi:[0,0,1]
	v_fmamk_f16 v2, v5, 0xb9a8, v16
	v_fmac_f16_e32 v20, 0xb9a8, v5
	v_pk_add_f16 v18, v3, v4 neg_lo:[0,1] neg_hi:[0,1]
	v_lshrrev_b32_e32 v21, 16, v3
	v_lshrrev_b32_e32 v4, 16, v17
	v_sub_nc_u32_e32 v1, v1, v9
	v_fma_f16 v5, v8, 2.0, -v20
	v_pk_add_f16 v8, v22, v0 op_sel:[0,1] op_sel_hi:[1,0] neg_lo:[0,1] neg_hi:[0,1]
	v_fmac_f16_e32 v2, 0x39a8, v10
	v_fmamk_f16 v10, v14, 0x39a8, v19
	v_bfi_b32 v9, 0xffff, v18, v17
	v_fmamk_f16 v0, v11, 0x39a8, v15
	v_fma_f16 v4, v21, 2.0, -v4
	v_lshrrev_b32_e32 v17, 16, v22
	v_lshrrev_b32_e32 v21, 16, v8
	v_mul_u32_u24_e32 v1, 0x108, v1
	v_fmac_f16_e32 v10, 0x39a8, v11
	v_pack_b32_f16 v3, v16, v3
	v_pack_b32_f16 v11, v2, v18
	v_fmac_f16_e32 v0, 0xb9a8, v14
	v_fma_f16 v14, v17, 2.0, -v21
	v_fma_f16 v16, v22, 2.0, -v8
	v_lshl_add_u32 v17, v1, 2, 0
	v_pk_fma_f16 v3, v3, 2.0, v11 op_sel_hi:[1,0,1] neg_lo:[0,0,1] neg_hi:[0,0,1]
	v_fma_f16 v15, v15, 2.0, -v0
	v_lshlrev_b32_e32 v11, 16, v14
	v_and_b32_e32 v14, 0xffff, v16
	v_fma_f16 v16, v19, 2.0, -v10
	v_lshl_add_u32 v18, v26, 5, v17
	v_alignbit_b32 v4, v4, v3, 16
	v_pack_b32_f16 v3, v5, v3
	v_or_b32_e32 v5, v11, v14
	v_pack_b32_f16 v11, v15, v16
	v_pack_b32_f16 v2, v20, v2
	;; [unrolled: 1-line block ×3, first 2 shown]
	v_mad_i32_i24 v20, 0xffffffe4, v26, v18
	ds_store_2addr_b32 v18, v3, v4 offset0:1 offset1:2
	ds_store_2addr_b32 v18, v11, v8 offset0:3 offset1:4
	ds_store_2addr_b32 v18, v2, v9 offset0:5 offset1:6
	ds_store_2addr_b32 v18, v5, v14 offset1:7
	v_lshl_add_u32 v18, v26, 2, v17
	v_lshl_add_u32 v8, v7, 2, v17
	global_wb scope:SCOPE_SE
	s_wait_dscnt 0x0
	s_barrier_signal -1
	s_barrier_wait -1
	global_inv scope:SCOPE_SE
	ds_load_2addr_b32 v[4:5], v20 offset0:88 offset1:121
	ds_load_2addr_b32 v[2:3], v20 offset0:176 offset1:209
	ds_load_b32 v11, v18
	ds_load_u16 v29, v18 offset:2
	ds_load_b32 v8, v8
	v_lshlrev_b32_e32 v19, 2, v1
                                        ; implicit-def: $vgpr14
	s_and_saveexec_b32 s1, s0
	s_cbranch_execz .LBB0_14
; %bb.13:
	v_lshlrev_b32_e32 v9, 2, v6
	ds_load_2addr_b32 v[0:1], v20 offset0:154 offset1:242
	v_add3_u32 v9, 0, v9, v19
	ds_load_b32 v9, v9
	s_wait_dscnt 0x1
	v_lshrrev_b32_e32 v10, 16, v0
	v_lshrrev_b32_e32 v14, 16, v1
.LBB0_14:
	s_wait_alu 0xfffe
	s_or_b32 exec_lo, exec_lo, s1
	v_and_b32_e32 v17, 7, v26
	v_and_b32_e32 v27, 7, v7
	;; [unrolled: 1-line block ×3, first 2 shown]
	v_lshrrev_b32_e32 v28, 3, v26
	v_lshrrev_b32_e32 v7, 3, v7
	v_lshlrev_b32_e32 v15, 3, v17
	v_lshlrev_b32_e32 v22, 3, v27
	;; [unrolled: 1-line block ×3, first 2 shown]
	v_mul_u32_u24_e32 v28, 24, v28
	v_mul_lo_u32 v7, v7, 24
	s_clause 0x2
	global_load_b64 v[15:16], v15, s[4:5]
	global_load_b64 v[22:23], v22, s[4:5]
	;; [unrolled: 1-line block ×3, first 2 shown]
	s_wait_dscnt 0x4
	v_lshrrev_b32_e32 v31, 16, v4
	s_wait_dscnt 0x3
	v_lshrrev_b32_e32 v32, 16, v2
	v_or_b32_e32 v17, v28, v17
	v_lshrrev_b32_e32 v28, 16, v3
	s_wait_dscnt 0x0
	v_lshrrev_b32_e32 v30, 16, v8
	global_wb scope:SCOPE_SE
	s_wait_loadcnt 0x0
	v_or_b32_e32 v7, v7, v27
	v_lshlrev_b32_e32 v17, 2, v17
	v_lshrrev_b32_e32 v27, 16, v5
	s_barrier_signal -1
	s_barrier_wait -1
	v_lshlrev_b32_e32 v7, 2, v7
	v_add3_u32 v35, 0, v17, v19
	global_inv scope:SCOPE_SE
	v_add3_u32 v7, 0, v7, v19
	v_lshrrev_b32_e32 v17, 16, v15
	v_lshrrev_b32_e32 v33, 16, v16
	;; [unrolled: 1-line block ×4, first 2 shown]
	v_pk_mul_f16 v10, v10, v24 op_sel_hi:[0,1]
	v_pk_mul_f16 v14, v14, v25 op_sel_hi:[0,1]
	v_mul_f16_e32 v37, v17, v31
	v_mul_f16_e32 v17, v17, v4
	;; [unrolled: 1-line block ×8, first 2 shown]
	v_pk_fma_f16 v41, v0, v24, v10 op_sel:[0,0,1] op_sel_hi:[0,1,0]
	v_pk_fma_f16 v0, v0, v24, v10 op_sel:[0,0,1] op_sel_hi:[0,1,0] neg_lo:[0,0,1] neg_hi:[0,0,1]
	v_pk_fma_f16 v10, v1, v25, v14 op_sel:[0,0,1] op_sel_hi:[0,1,0]
	v_pk_fma_f16 v1, v1, v25, v14 op_sel:[0,0,1] op_sel_hi:[0,1,0] neg_lo:[0,0,1] neg_hi:[0,0,1]
	v_fma_f16 v4, v15, v4, -v37
	v_fmac_f16_e32 v17, v15, v31
	v_fma_f16 v2, v16, v2, -v38
	v_fmac_f16_e32 v33, v16, v32
	;; [unrolled: 2-line block ×3, first 2 shown]
	v_fmac_f16_e32 v36, v23, v28
	v_bfi_b32 v0, 0xffff, v0, v41
	v_bfi_b32 v1, 0xffff, v1, v10
	v_fma_f16 v3, v23, v3, -v40
	v_add_f16_e32 v10, v4, v11
	v_add_f16_e32 v14, v4, v2
	v_sub_f16_e32 v15, v17, v33
	v_add_f16_e32 v16, v29, v17
	v_add_f16_e32 v17, v17, v33
	;; [unrolled: 1-line block ×3, first 2 shown]
	v_sub_f16_e32 v24, v34, v36
	v_add_f16_e32 v25, v30, v34
	v_add_f16_e32 v32, v34, v36
	v_pk_add_f16 v34, v0, v1
	v_pk_add_f16 v37, v0, v1 neg_lo:[0,1] neg_hi:[0,1]
	v_add_f16_e32 v23, v5, v3
	v_sub_f16_e32 v4, v4, v2
	v_sub_f16_e32 v5, v5, v3
	v_pk_add_f16 v0, v9, v0
	v_add_f16_e32 v28, v10, v2
	v_fmac_f16_e32 v11, -0.5, v14
	v_fmac_f16_e32 v29, -0.5, v17
	v_add_f16_e32 v14, v22, v3
	v_pk_fma_f16 v2, v34, -0.5, v9 op_sel_hi:[1,0,1]
	v_pk_mul_f16 v3, 0x3aee, v37 op_sel_hi:[0,1]
	v_fmac_f16_e32 v8, -0.5, v23
	v_fmac_f16_e32 v30, -0.5, v32
	v_add_f16_e32 v27, v16, v33
	v_pk_add_f16 v9, v0, v1
	v_fmamk_f16 v10, v15, 0x3aee, v11
	v_fmamk_f16 v32, v4, 0xbaee, v29
	v_pk_add_f16 v0, v2, v3 op_sel:[0,1] op_sel_hi:[1,0] neg_lo:[0,1] neg_hi:[0,1]
	v_pk_add_f16 v16, v3, v2 op_sel:[1,0] op_sel_hi:[0,1]
	v_fmac_f16_e32 v11, 0xbaee, v15
	v_fmac_f16_e32 v29, 0x3aee, v4
	v_add_f16_e32 v31, v25, v36
	v_fmamk_f16 v15, v24, 0x3aee, v8
	v_fmamk_f16 v33, v5, 0xbaee, v30
	v_fmac_f16_e32 v8, 0xbaee, v24
	v_fmac_f16_e32 v30, 0x3aee, v5
	v_pack_b32_f16 v1, v28, v27
	v_lshrrev_b32_e32 v34, 16, v0
	v_pack_b32_f16 v3, v10, v32
	v_bfi_b32 v17, 0xffff, v0, v16
	v_pack_b32_f16 v4, v11, v29
	v_pack_b32_f16 v2, v14, v31
	;; [unrolled: 1-line block ×4, first 2 shown]
	ds_store_2addr_b32 v35, v1, v3 offset1:8
	ds_store_b32 v35, v4 offset:64
	ds_store_2addr_b32 v7, v2, v5 offset1:8
	ds_store_b32 v7, v22 offset:64
	s_and_saveexec_b32 s1, s0
	s_cbranch_execz .LBB0_16
; %bb.15:
	v_lshrrev_b32_e32 v0, 3, v6
	v_perm_b32 v1, v34, v16, 0x5040100
	s_delay_alu instid0(VALU_DEP_2) | instskip(NEXT) | instid1(VALU_DEP_1)
	v_mul_lo_u32 v0, v0, 24
	v_or_b32_e32 v0, v0, v21
	s_delay_alu instid0(VALU_DEP_1) | instskip(NEXT) | instid1(VALU_DEP_1)
	v_lshlrev_b32_e32 v0, 2, v0
	v_add3_u32 v0, 0, v0, v19
	ds_store_2addr_b32 v0, v9, v1 offset1:8
	ds_store_b32 v0, v17 offset:64
.LBB0_16:
	s_wait_alu 0xfffe
	s_or_b32 exec_lo, exec_lo, s1
	v_cmp_gt_u32_e64 s0, 24, v26
	v_lshrrev_b32_e32 v36, 16, v9
	global_wb scope:SCOPE_SE
	s_wait_dscnt 0x0
	s_barrier_signal -1
	s_barrier_wait -1
	global_inv scope:SCOPE_SE
                                        ; implicit-def: $vgpr37
                                        ; implicit-def: $vgpr19
                                        ; implicit-def: $vgpr35
	s_and_saveexec_b32 s1, s0
	s_cbranch_execnz .LBB0_19
; %bb.17:
	s_wait_alu 0xfffe
	s_or_b32 exec_lo, exec_lo, s1
	s_and_b32 s0, vcc_lo, s0
	s_wait_alu 0xfffe
	s_and_saveexec_b32 s1, s0
	s_cbranch_execnz .LBB0_20
.LBB0_18:
	s_endpgm
.LBB0_19:
	ds_load_b32 v28, v18
	ds_load_2addr_b32 v[18:19], v20 offset0:216 offset1:240
	ds_load_2addr_b32 v[10:11], v20 offset0:24 offset1:48
	;; [unrolled: 1-line block ×5, first 2 shown]
	s_wait_dscnt 0x5
	v_lshrrev_b32_e32 v27, 16, v28
	s_wait_dscnt 0x4
	v_lshrrev_b32_e32 v35, 16, v18
	v_lshrrev_b32_e32 v37, 16, v19
	s_wait_dscnt 0x3
	v_lshrrev_b32_e32 v32, 16, v10
	;; [unrolled: 3-line block ×5, first 2 shown]
	s_wait_alu 0xfffe
	s_or_b32 exec_lo, exec_lo, s1
	s_and_b32 s0, vcc_lo, s0
	s_wait_alu 0xfffe
	s_and_saveexec_b32 s1, s0
	s_cbranch_execz .LBB0_18
.LBB0_20:
	v_add_nc_u32_e32 v47, 48, v26
	v_mul_u32_u24_e32 v0, 10, v26
	v_mad_co_u64_u32 v[24:25], null, s8, v26, 0
	v_or_b32_e32 v49, 0x60, v26
	s_delay_alu instid0(VALU_DEP_4) | instskip(NEXT) | instid1(VALU_DEP_4)
	v_mad_co_u64_u32 v[40:41], null, s8, v47, 0
	v_lshlrev_b32_e32 v4, 2, v0
	v_add_co_u32 v12, vcc_lo, s10, v12
	v_mad_co_u64_u32 v[44:45], null, s9, v26, v[25:26]
	s_delay_alu instid0(VALU_DEP_4)
	v_dual_mov_b32 v25, v41 :: v_dual_add_nc_u32 v48, 0x48, v26
	s_clause 0x2
	global_load_b64 v[20:21], v4, s[4:5] offset:96
	global_load_b128 v[0:3], v4, s[4:5] offset:64
	global_load_b128 v[4:7], v4, s[4:5] offset:80
	v_mad_co_u64_u32 v[22:23], null, s8, v49, 0
	v_mad_co_u64_u32 v[42:43], null, s8, v48, 0
	v_add_nc_u32_e32 v46, 24, v26
	s_wait_alu 0xfffd
	v_add_co_ci_u32_e32 v13, vcc_lo, s11, v13, vcc_lo
	v_lshrrev_b32_e32 v50, 16, v17
	s_delay_alu instid0(VALU_DEP_4) | instskip(SKIP_1) | instid1(VALU_DEP_1)
	v_mov_b32_e32 v41, v43
	v_mad_co_u64_u32 v[38:39], null, s8, v46, 0
	v_mad_co_u64_u32 v[45:46], null, s9, v46, v[39:40]
	;; [unrolled: 1-line block ×3, first 2 shown]
	v_mov_b32_e32 v25, v44
	v_mad_co_u64_u32 v[47:48], null, s9, v48, v[41:42]
	s_delay_alu instid0(VALU_DEP_4) | instskip(NEXT) | instid1(VALU_DEP_3)
	v_dual_mov_b32 v39, v45 :: v_dual_add_nc_u32 v48, 0x78, v26
	v_lshlrev_b64_e32 v[24:25], 2, v[24:25]
	v_mov_b32_e32 v41, v46
	s_delay_alu instid0(VALU_DEP_4) | instskip(NEXT) | instid1(VALU_DEP_4)
	v_mov_b32_e32 v43, v47
	v_lshlrev_b64_e32 v[38:39], 2, v[38:39]
	s_delay_alu instid0(VALU_DEP_4) | instskip(SKIP_3) | instid1(VALU_DEP_4)
	v_mad_co_u64_u32 v[44:45], null, s9, v49, v[23:24]
	v_add_co_u32 v23, vcc_lo, v12, v24
	s_wait_alu 0xfffd
	v_add_co_ci_u32_e32 v24, vcc_lo, v13, v25, vcc_lo
	v_add_co_u32 v38, vcc_lo, v12, v38
	s_wait_alu 0xfffd
	v_add_co_ci_u32_e32 v39, vcc_lo, v13, v39, vcc_lo
	v_lshlrev_b64_e32 v[40:41], 2, v[40:41]
	v_lshlrev_b64_e32 v[42:43], 2, v[42:43]
	s_wait_loadcnt 0x2
	v_lshrrev_b32_e32 v45, 16, v21
	s_wait_loadcnt 0x1
	v_lshrrev_b32_e32 v47, 16, v0
	v_lshrrev_b32_e32 v25, 16, v20
	v_mul_f16_e32 v46, v37, v21
	v_lshrrev_b32_e32 v49, 16, v1
	v_mul_f16_e32 v53, v32, v0
	v_mul_f16_e32 v54, v35, v20
	s_wait_loadcnt 0x0
	v_lshrrev_b32_e32 v56, 16, v4
	v_lshrrev_b32_e32 v59, 16, v7
	v_mul_f16_e32 v32, v32, v47
	v_mul_f16_e32 v37, v37, v45
	v_lshrrev_b32_e32 v51, 16, v2
	v_mul_f16_e32 v55, v29, v1
	v_mul_f16_e32 v60, v50, v7
	;; [unrolled: 1-line block ×3, first 2 shown]
	v_fmac_f16_e32 v53, v10, v47
	v_fmac_f16_e32 v54, v18, v25
	v_mul_f16_e32 v29, v29, v49
	v_mul_f16_e32 v25, v35, v25
	;; [unrolled: 1-line block ×4, first 2 shown]
	v_fma_f16 v0, v10, v0, -v32
	v_fma_f16 v10, v19, v21, -v37
	v_lshrrev_b32_e32 v52, 16, v3
	v_lshrrev_b32_e32 v57, 16, v5
	;; [unrolled: 1-line block ×3, first 2 shown]
	v_mul_f16_e32 v61, v31, v2
	v_mul_f16_e32 v62, v34, v6
	;; [unrolled: 1-line block ×4, first 2 shown]
	v_fmac_f16_e32 v55, v11, v49
	v_fmac_f16_e32 v60, v17, v59
	v_mul_f16_e32 v31, v31, v51
	v_fma_f16 v1, v11, v1, -v29
	v_fma_f16 v7, v17, v7, -v35
	;; [unrolled: 1-line block ×3, first 2 shown]
	v_add_f16_e32 v17, v27, v53
	v_sub_f16_e32 v29, v0, v10
	v_add_f16_e32 v30, v10, v0
	v_add_f16_e32 v0, v28, v0
	v_fmac_f16_e32 v46, v19, v45
	v_fmac_f16_e32 v61, v14, v51
	;; [unrolled: 1-line block ×4, first 2 shown]
	v_mul_f16_e32 v33, v33, v52
	v_mul_f16_e32 v34, v34, v58
	v_fmac_f16_e32 v64, v9, v57
	v_fmac_f16_e32 v65, v8, v56
	v_mul_f16_e32 v36, v36, v57
	v_fma_f16 v2, v14, v2, -v31
	v_add_f16_e32 v17, v17, v55
	v_add_f16_e32 v0, v0, v1
	;; [unrolled: 1-line block ×3, first 2 shown]
	v_fma_f16 v11, v18, v20, -v25
	v_fma_f16 v3, v15, v3, -v33
	;; [unrolled: 1-line block ×4, first 2 shown]
	v_sub_f16_e32 v8, v53, v46
	v_sub_f16_e32 v9, v55, v54
	;; [unrolled: 1-line block ×5, first 2 shown]
	v_add_f16_e32 v18, v54, v55
	v_add_f16_e32 v19, v60, v61
	;; [unrolled: 1-line block ×6, first 2 shown]
	v_mul_f16_e32 v25, 0xb93d, v45
	v_mul_f16_e32 v31, 0xba0c, v8
	v_add_f16_e32 v32, v11, v1
	v_mul_f16_e32 v33, 0x3beb, v9
	v_add_f16_e32 v34, v7, v2
	;; [unrolled: 2-line block ×4, first 2 shown]
	v_mul_f16_e32 v49, 0x3b47, v16
	v_mul_f16_e32 v50, 0xbbad, v45
	v_mul_f16_e32 v51, 0xb482, v8
	v_mul_f16_e32 v52, 0x3853, v9
	v_mul_f16_e32 v53, 0xba0c, v14
	v_mul_f16_e32 v56, 0x3b47, v15
	v_mul_f16_e32 v57, 0xbbeb, v16
	v_mul_f16_e32 v58, 0xbbeb, v8
	v_mul_f16_e32 v59, 0x3482, v9
	v_mul_f16_e32 v66, 0x3b47, v14
	v_mul_f16_e32 v67, 0xb853, v15
	v_mul_f16_e32 v68, 0xba0c, v16
	v_mul_f16_e32 v69, 0xbb47, v8
	v_mul_f16_e32 v70, 0xba0c, v9
	v_mul_f16_e32 v71, 0x3482, v14
	v_mul_f16_e32 v72, 0x3beb, v15
	v_mul_f16_e32 v73, 0x3853, v16
	v_mul_f16_e32 v8, 0xb853, v8
	v_mul_f16_e32 v9, 0xbb47, v9
	v_mul_f16_e32 v14, 0xbbeb, v14
	v_mul_f16_e32 v15, 0xba0c, v15
	v_mul_f16_e32 v16, 0xb482, v16
	v_sub_f16_e32 v55, v1, v11
	v_mul_f16_e32 v74, 0x3abb, v18
	v_mul_f16_e32 v75, 0xb08e, v18
	v_sub_f16_e32 v76, v2, v7
	v_mul_f16_e32 v77, 0xb93d, v19
	v_mul_f16_e32 v78, 0x3abb, v19
	;; [unrolled: 3-line block ×4, first 2 shown]
	v_add_f16_e32 v17, v17, v63
	v_add_f16_e32 v0, v0, v3
	v_fmamk_f16 v85, v30, 0xb93d, v31
	v_fmamk_f16 v86, v32, 0xb08e, v33
	;; [unrolled: 1-line block ×10, first 2 shown]
	v_fma_f16 v51, v30, 0xbbad, -v51
	v_fma_f16 v52, v32, 0x3abb, -v52
	;; [unrolled: 1-line block ×21, first 2 shown]
	v_fmac_f16_e32 v58, 0xb08e, v30
	v_fmac_f16_e32 v69, 0x36a6, v30
	v_fmac_f16_e32 v8, 0x3abb, v30
	v_fma_f16 v30, v32, 0x36a6, -v9
	v_fmac_f16_e32 v59, 0xbbad, v32
	v_fmac_f16_e32 v70, 0xb93d, v32
	v_fmac_f16_e32 v9, 0x36a6, v32
	v_fma_f16 v32, v34, 0xb08e, -v14
	;; [unrolled: 4-line block ×4, first 2 shown]
	v_fmac_f16_e32 v68, 0xb93d, v47
	v_fmac_f16_e32 v73, 0x3abb, v47
	;; [unrolled: 1-line block ×3, first 2 shown]
	v_fmamk_f16 v47, v29, 0x3482, v50
	v_fmac_f16_e32 v50, 0xb482, v29
	v_fmamk_f16 v106, v29, 0x3a0c, v25
	v_fmac_f16_e32 v25, 0xba0c, v29
	v_mul_f16_e32 v107, 0xbbeb, v29
	v_mul_f16_e32 v108, 0xbb47, v29
	v_mul_f16_e32 v29, 0xb853, v29
	v_fmamk_f16 v1, v55, 0xb853, v74
	v_fmac_f16_e32 v74, 0x3853, v55
	v_fmamk_f16 v109, v55, 0xbbeb, v75
	v_fmac_f16_e32 v75, 0x3beb, v55
	v_mul_f16_e32 v110, 0x3482, v55
	v_mul_f16_e32 v111, 0xba0c, v55
	v_mul_f16_e32 v55, 0xbb47, v55
	;; [unrolled: 7-line block ×5, first 2 shown]
	v_add_f16_e32 v3, v17, v65
	v_add_f16_e32 v0, v0, v4
	v_fmamk_f16 v123, v45, 0xb08e, v107
	v_fma_f16 v107, v45, 0xb08e, -v107
	v_fmamk_f16 v124, v45, 0x36a6, v108
	v_fma_f16 v108, v45, 0x36a6, -v108
	;; [unrolled: 2-line block ×8, first 2 shown]
	v_fma_f16 v128, 0xb08e, v19, v76
	v_fma_f16 v19, v19, 0xb08e, -v76
	v_fmamk_f16 v63, v20, 0x3abb, v117
	v_fma_f16 v76, v20, 0x3abb, -v117
	v_fmamk_f16 v117, v20, 0xb08e, v118
	v_fma_f16 v118, v20, 0xb08e, -v118
	v_fma_f16 v129, 0xb93d, v20, v79
	v_fma_f16 v20, v20, 0xb93d, -v79
	v_fmamk_f16 v79, v21, 0xb93d, v121
	v_fma_f16 v121, v21, 0xb93d, -v121
	v_fma_f16 v130, 0x3abb, v21, v122
	v_fma_f16 v122, v21, 0x3abb, -v122
	v_fma_f16 v131, 0xbbad, v21, v82
	v_fma_f16 v21, v21, 0xbbad, -v82
	v_add_f16_e32 v82, v28, v85
	v_add_f16_e32 v85, v28, v90
	;; [unrolled: 1-line block ×51, first 2 shown]
	v_add_f16_e64 v45, v52, v128
	v_add_f16_e32 v3, v54, v3
	v_add_f16_e32 v0, v11, v0
	;; [unrolled: 1-line block ×8, first 2 shown]
	v_add_f16_e64 v9, v45, v129
	v_add_f16_e32 v4, v70, v110
	v_add_f16_e32 v17, v17, v66
	;; [unrolled: 1-line block ×9, first 2 shown]
	v_add_f16_e64 v9, v9, v131
	v_add_f16_e32 v28, v85, v91
	v_add_f16_e32 v25, v25, v75
	;; [unrolled: 1-line block ×6, first 2 shown]
	v_pack_b32_f16 v0, v0, v3
	v_add_f16_e32 v10, v1, v79
	v_pack_b32_f16 v1, v7, v9
	v_add_f16_e32 v28, v28, v92
	v_add_f16_e32 v47, v47, v77
	;; [unrolled: 1-line block ×11, first 2 shown]
	s_clause 0x1
	global_store_b32 v[23:24], v0, off
	global_store_b32 v[38:39], v1, off
	v_dual_mov_b32 v23, v44 :: v_dual_add_nc_u32 v24, 0xd8, v26
	v_mad_co_u64_u32 v[0:1], null, s8, v48, 0
	v_add_f16_e32 v27, v28, v93
	v_add_f16_e32 v28, v47, v80
	;; [unrolled: 1-line block ×8, first 2 shown]
	v_add_f16_e64 v8, v2, v130
	v_add_f16_e32 v18, v4, v121
	v_add_f16_e32 v20, v5, v122
	v_add_co_u32 v2, vcc_lo, v12, v40
	v_lshlrev_b64_e32 v[4:5], 2, v[22:23]
	s_wait_alu 0xfffd
	v_add_co_ci_u32_e32 v3, vcc_lo, v13, v41, vcc_lo
	v_add_f16_e32 v15, v27, v94
	v_add_f16_e32 v27, v28, v83
	;; [unrolled: 1-line block ×7, first 2 shown]
	v_pack_b32_f16 v11, v6, v8
	v_add_co_u32 v6, vcc_lo, v12, v42
	s_wait_alu 0xfffd
	v_add_co_ci_u32_e32 v7, vcc_lo, v13, v43, vcc_lo
	v_mad_co_u64_u32 v[8:9], null, s9, v48, v[1:2]
	v_add_co_u32 v4, vcc_lo, v12, v4
	v_pack_b32_f16 v9, v31, v10
	s_wait_alu 0xfffd
	v_add_co_ci_u32_e32 v5, vcc_lo, v13, v5, vcc_lo
	v_pack_b32_f16 v10, v29, v25
	global_store_b32 v[2:3], v11, off
	v_mov_b32_e32 v1, v8
	global_store_b32 v[6:7], v9, off
	v_add_nc_u32_e32 v8, 0x90, v26
	global_store_b32 v[4:5], v10, off
	v_add_nc_u32_e32 v10, 0xa8, v26
	v_or_b32_e32 v22, 0xc0, v26
	v_pack_b32_f16 v23, v28, v27
	v_mad_co_u64_u32 v[2:3], null, s8, v8, 0
	s_delay_alu instid0(VALU_DEP_4) | instskip(NEXT) | instid1(VALU_DEP_4)
	v_mad_co_u64_u32 v[4:5], null, s8, v10, 0
	v_mad_co_u64_u32 v[6:7], null, s8, v22, 0
	v_add_f16_e32 v53, v58, v71
	s_delay_alu instid0(VALU_DEP_3) | instskip(NEXT) | instid1(VALU_DEP_3)
	v_mad_co_u64_u32 v[8:9], null, s9, v8, v[3:4]
	v_mad_co_u64_u32 v[9:10], null, s9, v10, v[5:6]
	s_delay_alu instid0(VALU_DEP_4) | instskip(SKIP_3) | instid1(VALU_DEP_4)
	v_mov_b32_e32 v5, v7
	v_mad_co_u64_u32 v[10:11], null, s8, v24, 0
	v_add_f16_e32 v32, v53, v72
	v_mov_b32_e32 v3, v8
	v_mad_co_u64_u32 v[7:8], null, s9, v22, v[5:6]
	v_add_nc_u32_e32 v22, 0xf0, v26
	v_lshlrev_b64_e32 v[0:1], 2, v[0:1]
	v_mov_b32_e32 v5, v9
	v_add_f16_e32 v17, v32, v73
	s_delay_alu instid0(VALU_DEP_4) | instskip(NEXT) | instid1(VALU_DEP_4)
	v_mad_co_u64_u32 v[8:9], null, s8, v22, 0
	v_add_co_u32 v0, vcc_lo, v12, v0
	s_wait_alu 0xfffd
	v_add_co_ci_u32_e32 v1, vcc_lo, v13, v1, vcc_lo
	v_lshlrev_b64_e32 v[4:5], 2, v[4:5]
	v_lshlrev_b64_e32 v[6:7], 2, v[6:7]
	global_store_b32 v[0:1], v23, off
	v_lshlrev_b64_e32 v[0:1], 2, v[2:3]
	v_mov_b32_e32 v2, v11
	v_pack_b32_f16 v23, v15, v14
	s_delay_alu instid0(VALU_DEP_2) | instskip(SKIP_4) | instid1(VALU_DEP_3)
	v_mad_co_u64_u32 v[2:3], null, s9, v24, v[2:3]
	v_mov_b32_e32 v3, v9
	v_add_co_u32 v0, vcc_lo, v12, v0
	s_wait_alu 0xfffd
	v_add_co_ci_u32_e32 v1, vcc_lo, v13, v1, vcc_lo
	v_mad_co_u64_u32 v[14:15], null, s9, v22, v[3:4]
	v_mov_b32_e32 v11, v2
	v_add_co_u32 v2, vcc_lo, v12, v4
	s_wait_alu 0xfffd
	v_add_co_ci_u32_e32 v3, vcc_lo, v13, v5, vcc_lo
	s_delay_alu instid0(VALU_DEP_3) | instskip(SKIP_4) | instid1(VALU_DEP_3)
	v_lshlrev_b64_e32 v[4:5], 2, v[10:11]
	v_mov_b32_e32 v9, v14
	v_add_co_u32 v6, vcc_lo, v12, v6
	s_wait_alu 0xfffd
	v_add_co_ci_u32_e32 v7, vcc_lo, v13, v7, vcc_lo
	v_lshlrev_b64_e32 v[8:9], 2, v[8:9]
	v_add_co_u32 v4, vcc_lo, v12, v4
	v_pack_b32_f16 v15, v34, v19
	s_wait_alu 0xfffd
	v_add_co_ci_u32_e32 v5, vcc_lo, v13, v5, vcc_lo
	v_pack_b32_f16 v10, v30, v18
	v_add_co_u32 v8, vcc_lo, v12, v8
	v_pack_b32_f16 v11, v17, v20
	s_wait_alu 0xfffd
	v_add_co_ci_u32_e32 v9, vcc_lo, v13, v9, vcc_lo
	v_pack_b32_f16 v12, v16, v21
	s_clause 0x4
	global_store_b32 v[0:1], v23, off
	global_store_b32 v[2:3], v15, off
	global_store_b32 v[6:7], v10, off
	global_store_b32 v[4:5], v11, off
	global_store_b32 v[8:9], v12, off
	s_nop 0
	s_sendmsg sendmsg(MSG_DEALLOC_VGPRS)
	s_endpgm
	.section	.rodata,"a",@progbits
	.p2align	6, 0x0
	.amdhsa_kernel fft_rtc_fwd_len264_factors_8_3_11_wgs_231_tpt_33_half_ip_CI_sbrr_dirReg
		.amdhsa_group_segment_fixed_size 0
		.amdhsa_private_segment_fixed_size 0
		.amdhsa_kernarg_size 88
		.amdhsa_user_sgpr_count 2
		.amdhsa_user_sgpr_dispatch_ptr 0
		.amdhsa_user_sgpr_queue_ptr 0
		.amdhsa_user_sgpr_kernarg_segment_ptr 1
		.amdhsa_user_sgpr_dispatch_id 0
		.amdhsa_user_sgpr_private_segment_size 0
		.amdhsa_wavefront_size32 1
		.amdhsa_uses_dynamic_stack 0
		.amdhsa_enable_private_segment 0
		.amdhsa_system_sgpr_workgroup_id_x 1
		.amdhsa_system_sgpr_workgroup_id_y 0
		.amdhsa_system_sgpr_workgroup_id_z 0
		.amdhsa_system_sgpr_workgroup_info 0
		.amdhsa_system_vgpr_workitem_id 0
		.amdhsa_next_free_vgpr 132
		.amdhsa_next_free_sgpr 35
		.amdhsa_reserve_vcc 1
		.amdhsa_float_round_mode_32 0
		.amdhsa_float_round_mode_16_64 0
		.amdhsa_float_denorm_mode_32 3
		.amdhsa_float_denorm_mode_16_64 3
		.amdhsa_fp16_overflow 0
		.amdhsa_workgroup_processor_mode 1
		.amdhsa_memory_ordered 1
		.amdhsa_forward_progress 0
		.amdhsa_round_robin_scheduling 0
		.amdhsa_exception_fp_ieee_invalid_op 0
		.amdhsa_exception_fp_denorm_src 0
		.amdhsa_exception_fp_ieee_div_zero 0
		.amdhsa_exception_fp_ieee_overflow 0
		.amdhsa_exception_fp_ieee_underflow 0
		.amdhsa_exception_fp_ieee_inexact 0
		.amdhsa_exception_int_div_zero 0
	.end_amdhsa_kernel
	.text
.Lfunc_end0:
	.size	fft_rtc_fwd_len264_factors_8_3_11_wgs_231_tpt_33_half_ip_CI_sbrr_dirReg, .Lfunc_end0-fft_rtc_fwd_len264_factors_8_3_11_wgs_231_tpt_33_half_ip_CI_sbrr_dirReg
                                        ; -- End function
	.section	.AMDGPU.csdata,"",@progbits
; Kernel info:
; codeLenInByte = 6656
; NumSgprs: 37
; NumVgprs: 132
; ScratchSize: 0
; MemoryBound: 0
; FloatMode: 240
; IeeeMode: 1
; LDSByteSize: 0 bytes/workgroup (compile time only)
; SGPRBlocks: 4
; VGPRBlocks: 16
; NumSGPRsForWavesPerEU: 37
; NumVGPRsForWavesPerEU: 132
; Occupancy: 10
; WaveLimiterHint : 1
; COMPUTE_PGM_RSRC2:SCRATCH_EN: 0
; COMPUTE_PGM_RSRC2:USER_SGPR: 2
; COMPUTE_PGM_RSRC2:TRAP_HANDLER: 0
; COMPUTE_PGM_RSRC2:TGID_X_EN: 1
; COMPUTE_PGM_RSRC2:TGID_Y_EN: 0
; COMPUTE_PGM_RSRC2:TGID_Z_EN: 0
; COMPUTE_PGM_RSRC2:TIDIG_COMP_CNT: 0
	.text
	.p2alignl 7, 3214868480
	.fill 96, 4, 3214868480
	.type	__hip_cuid_3ce1c097204eb0ac,@object ; @__hip_cuid_3ce1c097204eb0ac
	.section	.bss,"aw",@nobits
	.globl	__hip_cuid_3ce1c097204eb0ac
__hip_cuid_3ce1c097204eb0ac:
	.byte	0                               ; 0x0
	.size	__hip_cuid_3ce1c097204eb0ac, 1

	.ident	"AMD clang version 19.0.0git (https://github.com/RadeonOpenCompute/llvm-project roc-6.4.0 25133 c7fe45cf4b819c5991fe208aaa96edf142730f1d)"
	.section	".note.GNU-stack","",@progbits
	.addrsig
	.addrsig_sym __hip_cuid_3ce1c097204eb0ac
	.amdgpu_metadata
---
amdhsa.kernels:
  - .args:
      - .actual_access:  read_only
        .address_space:  global
        .offset:         0
        .size:           8
        .value_kind:     global_buffer
      - .offset:         8
        .size:           8
        .value_kind:     by_value
      - .actual_access:  read_only
        .address_space:  global
        .offset:         16
        .size:           8
        .value_kind:     global_buffer
      - .actual_access:  read_only
        .address_space:  global
        .offset:         24
        .size:           8
        .value_kind:     global_buffer
      - .offset:         32
        .size:           8
        .value_kind:     by_value
      - .actual_access:  read_only
        .address_space:  global
        .offset:         40
        .size:           8
        .value_kind:     global_buffer
      - .actual_access:  read_only
        .address_space:  global
        .offset:         48
        .size:           8
        .value_kind:     global_buffer
      - .offset:         56
        .size:           4
        .value_kind:     by_value
      - .actual_access:  read_only
        .address_space:  global
        .offset:         64
        .size:           8
        .value_kind:     global_buffer
      - .actual_access:  read_only
        .address_space:  global
        .offset:         72
        .size:           8
        .value_kind:     global_buffer
      - .address_space:  global
        .offset:         80
        .size:           8
        .value_kind:     global_buffer
    .group_segment_fixed_size: 0
    .kernarg_segment_align: 8
    .kernarg_segment_size: 88
    .language:       OpenCL C
    .language_version:
      - 2
      - 0
    .max_flat_workgroup_size: 231
    .name:           fft_rtc_fwd_len264_factors_8_3_11_wgs_231_tpt_33_half_ip_CI_sbrr_dirReg
    .private_segment_fixed_size: 0
    .sgpr_count:     37
    .sgpr_spill_count: 0
    .symbol:         fft_rtc_fwd_len264_factors_8_3_11_wgs_231_tpt_33_half_ip_CI_sbrr_dirReg.kd
    .uniform_work_group_size: 1
    .uses_dynamic_stack: false
    .vgpr_count:     132
    .vgpr_spill_count: 0
    .wavefront_size: 32
    .workgroup_processor_mode: 1
amdhsa.target:   amdgcn-amd-amdhsa--gfx1201
amdhsa.version:
  - 1
  - 2
...

	.end_amdgpu_metadata
